;; amdgpu-corpus repo=ROCm/rocFFT kind=compiled arch=gfx1030 opt=O3
	.text
	.amdgcn_target "amdgcn-amd-amdhsa--gfx1030"
	.amdhsa_code_object_version 6
	.protected	fft_rtc_fwd_len84_factors_7_2_6_wgs_120_tpt_12_halfLds_half_op_CI_CI_sbrr_dirReg ; -- Begin function fft_rtc_fwd_len84_factors_7_2_6_wgs_120_tpt_12_halfLds_half_op_CI_CI_sbrr_dirReg
	.globl	fft_rtc_fwd_len84_factors_7_2_6_wgs_120_tpt_12_halfLds_half_op_CI_CI_sbrr_dirReg
	.p2align	8
	.type	fft_rtc_fwd_len84_factors_7_2_6_wgs_120_tpt_12_halfLds_half_op_CI_CI_sbrr_dirReg,@function
fft_rtc_fwd_len84_factors_7_2_6_wgs_120_tpt_12_halfLds_half_op_CI_CI_sbrr_dirReg: ; @fft_rtc_fwd_len84_factors_7_2_6_wgs_120_tpt_12_halfLds_half_op_CI_CI_sbrr_dirReg
; %bb.0:
	s_clause 0x1
	s_load_dwordx4 s[16:19], s[4:5], 0x18
	s_load_dwordx4 s[8:11], s[4:5], 0x0
	v_mul_u32_u24_e32 v1, 0x1556, v0
	v_mov_b32_e32 v9, 0
	v_mov_b32_e32 v7, 0
	v_mov_b32_e32 v8, 0
	s_load_dwordx4 s[12:15], s[4:5], 0x58
	s_waitcnt lgkmcnt(0)
	s_load_dwordx2 s[20:21], s[16:17], 0x0
	s_load_dwordx2 s[2:3], s[18:19], 0x0
	v_lshrrev_b32_e32 v1, 16, v1
	v_cmp_lt_u64_e64 s0, s[10:11], 2
	v_mad_u64_u32 v[5:6], null, s6, 10, v[1:2]
	v_mov_b32_e32 v6, v9
	v_mov_b32_e32 v1, v7
	;; [unrolled: 1-line block ×3, first 2 shown]
	s_and_b32 vcc_lo, exec_lo, s0
	v_mov_b32_e32 v3, v5
	v_mov_b32_e32 v4, v6
	s_cbranch_vccnz .LBB0_8
; %bb.1:
	s_load_dwordx2 s[0:1], s[4:5], 0x10
	v_mov_b32_e32 v7, 0
	v_mov_b32_e32 v8, 0
	s_add_u32 s6, s18, 8
	v_mov_b32_e32 v12, v6
	s_addc_u32 s7, s19, 0
	v_mov_b32_e32 v1, v7
	v_mov_b32_e32 v11, v5
	s_add_u32 s22, s16, 8
	v_mov_b32_e32 v2, v8
	s_addc_u32 s23, s17, 0
	s_mov_b64 s[26:27], 1
	s_waitcnt lgkmcnt(0)
	s_add_u32 s24, s0, 8
	s_addc_u32 s25, s1, 0
.LBB0_2:                                ; =>This Inner Loop Header: Depth=1
	s_load_dwordx2 s[28:29], s[24:25], 0x0
                                        ; implicit-def: $vgpr3_vgpr4
	s_mov_b32 s0, exec_lo
	s_waitcnt lgkmcnt(0)
	v_or_b32_e32 v10, s29, v12
	v_cmpx_ne_u64_e32 0, v[9:10]
	s_xor_b32 s1, exec_lo, s0
	s_cbranch_execz .LBB0_4
; %bb.3:                                ;   in Loop: Header=BB0_2 Depth=1
	v_cvt_f32_u32_e32 v3, s28
	v_cvt_f32_u32_e32 v4, s29
	s_sub_u32 s0, 0, s28
	s_subb_u32 s30, 0, s29
	v_fmac_f32_e32 v3, 0x4f800000, v4
	v_rcp_f32_e32 v3, v3
	v_mul_f32_e32 v3, 0x5f7ffffc, v3
	v_mul_f32_e32 v4, 0x2f800000, v3
	v_trunc_f32_e32 v4, v4
	v_fmac_f32_e32 v3, 0xcf800000, v4
	v_cvt_u32_f32_e32 v4, v4
	v_cvt_u32_f32_e32 v3, v3
	v_mul_lo_u32 v6, s0, v4
	v_mul_hi_u32 v10, s0, v3
	v_mul_lo_u32 v13, s30, v3
	v_add_nc_u32_e32 v6, v10, v6
	v_mul_lo_u32 v10, s0, v3
	v_add_nc_u32_e32 v6, v6, v13
	v_mul_hi_u32 v13, v3, v10
	v_mul_lo_u32 v14, v3, v6
	v_mul_hi_u32 v15, v3, v6
	v_mul_hi_u32 v16, v4, v10
	v_mul_lo_u32 v10, v4, v10
	v_mul_hi_u32 v17, v4, v6
	v_mul_lo_u32 v6, v4, v6
	v_add_co_u32 v13, vcc_lo, v13, v14
	v_add_co_ci_u32_e32 v14, vcc_lo, 0, v15, vcc_lo
	v_add_co_u32 v10, vcc_lo, v13, v10
	v_add_co_ci_u32_e32 v10, vcc_lo, v14, v16, vcc_lo
	v_add_co_ci_u32_e32 v13, vcc_lo, 0, v17, vcc_lo
	v_add_co_u32 v6, vcc_lo, v10, v6
	v_add_co_ci_u32_e32 v10, vcc_lo, 0, v13, vcc_lo
	v_add_co_u32 v3, vcc_lo, v3, v6
	v_add_co_ci_u32_e32 v4, vcc_lo, v4, v10, vcc_lo
	v_mul_hi_u32 v6, s0, v3
	v_mul_lo_u32 v13, s30, v3
	v_mul_lo_u32 v10, s0, v4
	v_add_nc_u32_e32 v6, v6, v10
	v_mul_lo_u32 v10, s0, v3
	v_add_nc_u32_e32 v6, v6, v13
	v_mul_hi_u32 v13, v3, v10
	v_mul_lo_u32 v14, v3, v6
	v_mul_hi_u32 v15, v3, v6
	v_mul_hi_u32 v16, v4, v10
	v_mul_lo_u32 v10, v4, v10
	v_mul_hi_u32 v17, v4, v6
	v_mul_lo_u32 v6, v4, v6
	v_add_co_u32 v13, vcc_lo, v13, v14
	v_add_co_ci_u32_e32 v14, vcc_lo, 0, v15, vcc_lo
	v_add_co_u32 v10, vcc_lo, v13, v10
	v_add_co_ci_u32_e32 v10, vcc_lo, v14, v16, vcc_lo
	v_add_co_ci_u32_e32 v13, vcc_lo, 0, v17, vcc_lo
	v_add_co_u32 v6, vcc_lo, v10, v6
	v_add_co_ci_u32_e32 v10, vcc_lo, 0, v13, vcc_lo
	v_add_co_u32 v6, vcc_lo, v3, v6
	v_add_co_ci_u32_e32 v10, vcc_lo, v4, v10, vcc_lo
	v_mul_hi_u32 v17, v11, v6
	v_mad_u64_u32 v[13:14], null, v12, v6, 0
	v_mad_u64_u32 v[3:4], null, v11, v10, 0
	v_mad_u64_u32 v[15:16], null, v12, v10, 0
	v_add_co_u32 v3, vcc_lo, v17, v3
	v_add_co_ci_u32_e32 v4, vcc_lo, 0, v4, vcc_lo
	v_add_co_u32 v3, vcc_lo, v3, v13
	v_add_co_ci_u32_e32 v3, vcc_lo, v4, v14, vcc_lo
	v_add_co_ci_u32_e32 v4, vcc_lo, 0, v16, vcc_lo
	v_add_co_u32 v6, vcc_lo, v3, v15
	v_add_co_ci_u32_e32 v10, vcc_lo, 0, v4, vcc_lo
	v_mul_lo_u32 v13, s29, v6
	v_mad_u64_u32 v[3:4], null, s28, v6, 0
	v_mul_lo_u32 v14, s28, v10
	v_sub_co_u32 v3, vcc_lo, v11, v3
	v_add3_u32 v4, v4, v14, v13
	v_sub_nc_u32_e32 v13, v12, v4
	v_subrev_co_ci_u32_e64 v13, s0, s29, v13, vcc_lo
	v_add_co_u32 v14, s0, v6, 2
	v_add_co_ci_u32_e64 v15, s0, 0, v10, s0
	v_sub_co_u32 v16, s0, v3, s28
	v_sub_co_ci_u32_e32 v4, vcc_lo, v12, v4, vcc_lo
	v_subrev_co_ci_u32_e64 v13, s0, 0, v13, s0
	v_cmp_le_u32_e32 vcc_lo, s28, v16
	v_cmp_eq_u32_e64 s0, s29, v4
	v_cndmask_b32_e64 v16, 0, -1, vcc_lo
	v_cmp_le_u32_e32 vcc_lo, s29, v13
	v_cndmask_b32_e64 v17, 0, -1, vcc_lo
	v_cmp_le_u32_e32 vcc_lo, s28, v3
	;; [unrolled: 2-line block ×3, first 2 shown]
	v_cndmask_b32_e64 v18, 0, -1, vcc_lo
	v_cmp_eq_u32_e32 vcc_lo, s29, v13
	v_cndmask_b32_e64 v3, v18, v3, s0
	v_cndmask_b32_e32 v13, v17, v16, vcc_lo
	v_add_co_u32 v16, vcc_lo, v6, 1
	v_add_co_ci_u32_e32 v17, vcc_lo, 0, v10, vcc_lo
	v_cmp_ne_u32_e32 vcc_lo, 0, v13
	v_cndmask_b32_e32 v4, v17, v15, vcc_lo
	v_cndmask_b32_e32 v13, v16, v14, vcc_lo
	v_cmp_ne_u32_e32 vcc_lo, 0, v3
	v_cndmask_b32_e32 v4, v10, v4, vcc_lo
	v_cndmask_b32_e32 v3, v6, v13, vcc_lo
.LBB0_4:                                ;   in Loop: Header=BB0_2 Depth=1
	s_andn2_saveexec_b32 s0, s1
	s_cbranch_execz .LBB0_6
; %bb.5:                                ;   in Loop: Header=BB0_2 Depth=1
	v_cvt_f32_u32_e32 v3, s28
	s_sub_i32 s1, 0, s28
	v_rcp_iflag_f32_e32 v3, v3
	v_mul_f32_e32 v3, 0x4f7ffffe, v3
	v_cvt_u32_f32_e32 v3, v3
	v_mul_lo_u32 v4, s1, v3
	v_mul_hi_u32 v4, v3, v4
	v_add_nc_u32_e32 v3, v3, v4
	v_mul_hi_u32 v3, v11, v3
	v_mul_lo_u32 v4, v3, s28
	v_add_nc_u32_e32 v6, 1, v3
	v_sub_nc_u32_e32 v4, v11, v4
	v_subrev_nc_u32_e32 v10, s28, v4
	v_cmp_le_u32_e32 vcc_lo, s28, v4
	v_cndmask_b32_e32 v4, v4, v10, vcc_lo
	v_cndmask_b32_e32 v3, v3, v6, vcc_lo
	v_cmp_le_u32_e32 vcc_lo, s28, v4
	v_add_nc_u32_e32 v6, 1, v3
	v_mov_b32_e32 v4, v9
	v_cndmask_b32_e32 v3, v3, v6, vcc_lo
.LBB0_6:                                ;   in Loop: Header=BB0_2 Depth=1
	s_or_b32 exec_lo, exec_lo, s0
	v_mul_lo_u32 v6, v4, s28
	v_mul_lo_u32 v10, v3, s29
	s_load_dwordx2 s[0:1], s[22:23], 0x0
	v_mad_u64_u32 v[13:14], null, v3, s28, 0
	s_load_dwordx2 s[28:29], s[6:7], 0x0
	s_add_u32 s26, s26, 1
	s_addc_u32 s27, s27, 0
	s_add_u32 s6, s6, 8
	s_addc_u32 s7, s7, 0
	s_add_u32 s22, s22, 8
	v_add3_u32 v6, v14, v10, v6
	v_sub_co_u32 v10, vcc_lo, v11, v13
	s_addc_u32 s23, s23, 0
	s_add_u32 s24, s24, 8
	v_sub_co_ci_u32_e32 v6, vcc_lo, v12, v6, vcc_lo
	s_addc_u32 s25, s25, 0
	s_waitcnt lgkmcnt(0)
	v_mul_lo_u32 v11, s0, v6
	v_mul_lo_u32 v12, s1, v10
	v_mad_u64_u32 v[7:8], null, s0, v10, v[7:8]
	v_mul_lo_u32 v6, s28, v6
	v_mul_lo_u32 v13, s29, v10
	v_mad_u64_u32 v[1:2], null, s28, v10, v[1:2]
	v_cmp_ge_u64_e64 s0, s[26:27], s[10:11]
	v_add3_u32 v8, v12, v8, v11
	v_add3_u32 v2, v13, v2, v6
	s_and_b32 vcc_lo, exec_lo, s0
	s_cbranch_vccnz .LBB0_8
; %bb.7:                                ;   in Loop: Header=BB0_2 Depth=1
	v_mov_b32_e32 v12, v4
	v_mov_b32_e32 v11, v3
	s_branch .LBB0_2
.LBB0_8:
	s_load_dwordx2 s[0:1], s[4:5], 0x28
	v_mul_hi_u32 v12, 0x15555556, v0
	s_lshl_b64 s[6:7], s[10:11], 3
                                        ; implicit-def: $sgpr10
                                        ; implicit-def: $vgpr6
                                        ; implicit-def: $vgpr9
                                        ; implicit-def: $vgpr10
                                        ; implicit-def: $vgpr11
	s_add_u32 s4, s18, s6
	s_addc_u32 s5, s19, s7
	s_waitcnt lgkmcnt(0)
	v_cmp_gt_u64_e32 vcc_lo, s[0:1], v[3:4]
	v_cmp_le_u64_e64 s0, s[0:1], v[3:4]
	s_and_saveexec_b32 s1, s0
	s_xor_b32 s0, exec_lo, s1
; %bb.9:
	v_mul_u32_u24_e32 v6, 12, v12
	s_mov_b32 s10, 0
                                        ; implicit-def: $vgpr12
                                        ; implicit-def: $vgpr7_vgpr8
	v_sub_nc_u32_e32 v6, v0, v6
                                        ; implicit-def: $vgpr0
	v_add_nc_u32_e32 v9, 12, v6
	v_add_nc_u32_e32 v10, 24, v6
	;; [unrolled: 1-line block ×3, first 2 shown]
; %bb.10:
	s_or_saveexec_b32 s1, s0
	v_mov_b32_e32 v21, s10
	v_mov_b32_e32 v18, s10
	;; [unrolled: 1-line block ×4, first 2 shown]
                                        ; implicit-def: $vgpr24
                                        ; implicit-def: $vgpr22
                                        ; implicit-def: $vgpr25
                                        ; implicit-def: $vgpr26
	s_xor_b32 exec_lo, exec_lo, s1
	s_cbranch_execz .LBB0_12
; %bb.11:
	s_add_u32 s6, s16, s6
	s_addc_u32 s7, s17, s7
	v_mul_u32_u24_e32 v6, 12, v12
	s_load_dwordx2 s[6:7], s[6:7], 0x0
	v_lshlrev_b64 v[7:8], 2, v[7:8]
	v_sub_nc_u32_e32 v6, v0, v6
	v_mad_u64_u32 v[12:13], null, s20, v6, 0
	v_add_nc_u32_e32 v9, 12, v6
	v_add_nc_u32_e32 v11, 36, v6
	;; [unrolled: 1-line block ×5, first 2 shown]
	v_mad_u64_u32 v[14:15], null, s20, v9, 0
	v_mov_b32_e32 v0, v13
	v_mad_u64_u32 v[20:21], null, s20, v11, 0
	s_waitcnt lgkmcnt(0)
	v_mul_lo_u32 v13, s7, v3
	v_mul_lo_u32 v25, s6, v4
	v_mad_u64_u32 v[18:19], null, s6, v3, 0
	v_mad_u64_u32 v[22:23], null, s21, v6, v[0:1]
	v_mov_b32_e32 v0, v15
	v_mad_u64_u32 v[16:17], null, s20, v10, 0
	v_mov_b32_e32 v15, v21
	v_add3_u32 v19, v19, v25, v13
	v_mad_u64_u32 v[23:24], null, s20, v27, 0
	v_mov_b32_e32 v13, v22
	v_mad_u64_u32 v[21:22], null, s21, v9, v[0:1]
	v_lshlrev_b64 v[18:19], 2, v[18:19]
	v_mad_u64_u32 v[25:26], null, s21, v11, v[15:16]
	v_or_b32_e32 v22, 48, v6
	v_lshlrev_b64 v[12:13], 2, v[12:13]
	v_add_co_u32 v0, s0, s12, v18
	v_add_co_ci_u32_e64 v18, s0, s13, v19, s0
	v_mov_b32_e32 v15, v21
	v_add_co_u32 v28, s0, v0, v7
	v_add_co_ci_u32_e64 v29, s0, v18, v8, s0
	v_lshlrev_b64 v[7:8], 2, v[14:15]
	v_mad_u64_u32 v[14:15], null, s21, v10, v[17:18]
	v_mad_u64_u32 v[18:19], null, s20, v22, 0
	v_mov_b32_e32 v0, v24
	v_mov_b32_e32 v21, v25
	v_add_co_u32 v12, s0, v28, v12
	v_mov_b32_e32 v17, v14
	v_mad_u64_u32 v[24:25], null, s21, v27, v[0:1]
	v_mad_u64_u32 v[25:26], null, s20, v30, 0
	v_mov_b32_e32 v0, v19
	v_lshlrev_b64 v[14:15], 2, v[20:21]
	v_add_co_ci_u32_e64 v13, s0, v29, v13, s0
	v_add_co_u32 v7, s0, v28, v7
	v_mad_u64_u32 v[20:21], null, s21, v22, v[0:1]
	v_mov_b32_e32 v19, v26
	v_add_co_ci_u32_e64 v8, s0, v29, v8, s0
	v_add_co_u32 v14, s0, v28, v14
	v_add_co_ci_u32_e64 v15, s0, v29, v15, s0
	v_mad_u64_u32 v[21:22], null, s21, v30, v[19:20]
	v_lshlrev_b64 v[22:23], 2, v[23:24]
	v_lshlrev_b64 v[16:17], 2, v[16:17]
	v_mov_b32_e32 v19, v20
	global_load_dword v0, v[14:15], off
	v_mov_b32_e32 v26, v21
	v_add_co_u32 v20, s0, v28, v22
	v_add_co_ci_u32_e64 v21, s0, v29, v23, s0
	v_lshlrev_b64 v[22:23], 2, v[25:26]
	v_add_co_u32 v16, s0, v28, v16
	global_load_dword v20, v[20:21], off
	v_lshlrev_b64 v[14:15], 2, v[18:19]
	v_add_co_ci_u32_e64 v17, s0, v29, v17, s0
	v_add_co_u32 v18, s0, v28, v22
	v_add_co_ci_u32_e64 v19, s0, v29, v23, s0
	v_add_co_u32 v14, s0, v28, v14
	v_add_co_ci_u32_e64 v15, s0, v29, v15, s0
	s_clause 0x4
	global_load_dword v22, v[18:19], off
	global_load_dword v18, v[12:13], off
	;; [unrolled: 1-line block ×5, first 2 shown]
	s_waitcnt vmcnt(5)
	v_lshrrev_b32_e32 v24, 16, v20
	v_perm_b32 v25, v20, v0, 0x5040100
	s_waitcnt vmcnt(4)
	v_perm_b32 v26, v22, v0, 0x7060302
.LBB0_12:
	s_or_b32 exec_lo, exec_lo, s1
	s_waitcnt vmcnt(0)
	v_perm_b32 v28, v23, v13, 0x5040100
	v_mul_hi_u32 v0, 0xcccccccd, v5
	v_perm_b32 v29, v21, v13, 0x7060302
	v_add_f16_e32 v7, v22, v21
	v_sub_f16_sdwa v12, v23, v24 dst_sel:DWORD dst_unused:UNUSED_PAD src0_sel:WORD_1 src1_sel:DWORD
	v_pk_add_f16 v8, v25, v28
	s_load_dwordx2 s[4:5], s[4:5], 0x0
	v_pk_add_f16 v13, v29, v26 neg_lo:[0,1] neg_hi:[0,1]
	v_cmp_gt_u32_e64 s1, 6, v6
	v_lshrrev_b32_e32 v0, 3, v0
	v_add_f16_sdwa v14, v7, v8 dst_sel:DWORD dst_unused:UNUSED_PAD src0_sel:DWORD src1_sel:WORD_1
	v_sub_f16_e32 v15, v7, v8
	v_alignbit_b32 v7, v7, v8, 16
	v_pack_b32_f16 v16, v12, v13
	v_add_f16_e32 v17, v12, v13
	v_mul_lo_u32 v0, v0, 10
	v_sub_f16_sdwa v12, v12, v13 dst_sel:DWORD dst_unused:UNUSED_PAD src0_sel:DWORD src1_sel:WORD_1
	v_pk_add_f16 v7, v8, v7 neg_lo:[0,1] neg_hi:[0,1]
	v_pk_add_f16 v16, v13, v16 neg_lo:[0,1] neg_hi:[0,1]
	v_add_f16_e32 v8, v14, v8
	v_add_f16_sdwa v13, v13, v17 dst_sel:DWORD dst_unused:UNUSED_PAD src0_sel:WORD_1 src1_sel:DWORD
	v_mul_f16_e32 v14, 0xba52, v15
	v_pk_mul_f16 v17, 0x39e02b26, v7
	v_sub_nc_u32_e32 v0, v5, v0
	v_add_f16_e32 v5, v8, v18
	v_pk_mul_f16 v20, 0x3574b846, v16
	v_mul_f16_e32 v12, 0x3b00, v12
	v_alignbit_b32 v14, v14, v17, 16
	v_mul_f16_e32 v19, 0x370e, v13
	v_fmamk_f16 v8, v8, 0xbcab, v5
	v_fmamk_f16 v15, v15, 0x3a52, v17
	v_add_f16_sdwa v17, v20, v20 dst_sel:DWORD dst_unused:UNUSED_PAD src0_sel:WORD_1 src1_sel:DWORD
	v_pk_fma_f16 v12, 0x3574b846, v16, v12 op_sel_hi:[1,1,0] neg_lo:[0,1,0] neg_hi:[0,1,1]
	v_pk_fma_f16 v7, 0x39e02b26, v7, v14 neg_lo:[0,1,0] neg_hi:[0,1,0]
	v_mul_u32_u24_e32 v30, 0x54, v0
	v_add_f16_e32 v0, v15, v8
	v_fmac_f16_e32 v17, 0x370e, v13
	v_pk_add_f16 v12, v12, v19 op_sel_hi:[1,0]
	v_pk_add_f16 v7, v7, v8 op_sel_hi:[1,0]
	v_lshl_add_u32 v8, v30, 1, 0
	v_lshlrev_b32_e32 v34, 1, v11
	v_add_f16_e32 v13, v0, v17
	v_sub_f16_e32 v0, v0, v17
	v_pk_add_f16 v15, v7, v12
	v_pk_add_f16 v7, v7, v12 neg_lo:[0,1] neg_hi:[0,1]
	v_mad_u32_u24 v27, v6, 14, v8
	v_pack_b32_f16 v12, v5, v13
	v_lshl_add_u32 v20, v9, 1, v8
	v_lshl_add_u32 v33, v10, 1, v8
	v_bfi_b32 v14, 0xffff, v15, v7
	v_alignbit_b32 v13, v7, v15, 16
	ds_write_b16 v27, v0 offset:12
	ds_write_b96 v27, v[12:14]
	v_lshl_add_u32 v14, v6, 1, v8
	v_mad_i32_i24 v19, v6, -12, v27
	s_waitcnt lgkmcnt(0)
	s_barrier
	buffer_gl0_inv
	ds_read_u16 v5, v14
	ds_read_u16 v16, v19 offset:84
	ds_read_u16 v13, v19 offset:108
	;; [unrolled: 1-line block ×3, first 2 shown]
	ds_read_u16 v7, v20
	ds_read_u16 v8, v33
	v_lshlrev_b32_e32 v15, 1, v30
                                        ; implicit-def: $vgpr17
	s_and_saveexec_b32 s0, s1
	s_cbranch_execz .LBB0_14
; %bb.13:
	v_add3_u32 v0, 0, v34, v15
	ds_read_u16 v0, v0
	ds_read_u16 v17, v19 offset:156
.LBB0_14:
	s_or_b32 exec_lo, exec_lo, s0
	v_add_f16_sdwa v23, v24, v23 dst_sel:DWORD dst_unused:UNUSED_PAD src0_sel:DWORD src1_sel:WORD_1
	v_pk_add_f16 v24, v26, v29
	v_sub_f16_e32 v21, v21, v22
	v_pk_add_f16 v22, v28, v25 neg_lo:[0,1] neg_hi:[0,1]
	s_waitcnt lgkmcnt(0)
	s_barrier
	v_add_f16_sdwa v25, v24, v23 dst_sel:DWORD dst_unused:UNUSED_PAD src0_sel:WORD_1 src1_sel:DWORD
	v_sub_f16_sdwa v26, v23, v24 dst_sel:DWORD dst_unused:UNUSED_PAD src0_sel:DWORD src1_sel:WORD_1
	v_sub_f16_sdwa v28, v24, v24 dst_sel:DWORD dst_unused:UNUSED_PAD src0_sel:WORD_1 src1_sel:DWORD
	v_sub_f16_e32 v23, v24, v23
	v_add_f16_sdwa v29, v22, v22 dst_sel:DWORD dst_unused:UNUSED_PAD src0_sel:WORD_1 src1_sel:DWORD
	v_sub_f16_sdwa v30, v22, v22 dst_sel:DWORD dst_unused:UNUSED_PAD src0_sel:DWORD src1_sel:WORD_1
	v_add_f16_e32 v24, v25, v24
	v_sub_f16_e32 v25, v21, v22
	v_sub_f16_sdwa v22, v22, v21 dst_sel:DWORD dst_unused:UNUSED_PAD src0_sel:WORD_1 src1_sel:DWORD
	v_add_f16_e32 v21, v21, v29
	v_mul_f16_e32 v23, 0x2b26, v23
	v_add_f16_sdwa v18, v24, v18 dst_sel:DWORD dst_unused:UNUSED_PAD src0_sel:DWORD src1_sel:WORD_1
	v_mul_f16_e32 v29, 0x3a52, v28
	v_mul_f16_e32 v30, 0xb846, v30
	;; [unrolled: 1-line block ×3, first 2 shown]
	v_fmamk_f16 v28, v28, 0x3a52, v23
	v_fmamk_f16 v24, v24, 0xbcab, v18
	v_fma_f16 v23, v26, 0x39e0, -v23
	v_fma_f16 v26, v26, 0xb9e0, -v29
	;; [unrolled: 1-line block ×4, first 2 shown]
	v_fmamk_f16 v25, v25, 0x3574, v30
	v_add_f16_e32 v23, v23, v24
	v_add_f16_e32 v26, v26, v24
	v_fmac_f16_e32 v29, 0x370e, v21
	v_fmac_f16_e32 v22, 0x370e, v21
	v_add_f16_e32 v24, v28, v24
	v_fmac_f16_e32 v25, 0x370e, v21
	buffer_gl0_inv
	v_sub_f16_e32 v21, v26, v29
	v_sub_f16_e32 v28, v23, v22
	v_add_f16_e32 v26, v29, v26
	v_add_f16_e32 v22, v22, v23
	v_sub_f16_e32 v29, v24, v25
	v_pack_b32_f16 v23, v28, v26
	v_pack_b32_f16 v22, v21, v22
	;; [unrolled: 1-line block ×3, first 2 shown]
	v_add_f16_e32 v26, v25, v24
	ds_write_b96 v27, v[21:23]
	ds_write_b16 v27, v26 offset:12
	s_waitcnt lgkmcnt(0)
	s_barrier
	buffer_gl0_inv
	ds_read_u16 v27, v14
	ds_read_u16 v30, v19 offset:84
	ds_read_u16 v31, v19 offset:108
	;; [unrolled: 1-line block ×3, first 2 shown]
	ds_read_u16 v28, v20
	ds_read_u16 v29, v33
                                        ; implicit-def: $vgpr33
	s_and_saveexec_b32 s0, s1
	s_cbranch_execz .LBB0_16
; %bb.15:
	v_add3_u32 v18, 0, v34, v15
	ds_read_u16 v26, v18
	ds_read_u16 v33, v19 offset:156
.LBB0_16:
	s_or_b32 exec_lo, exec_lo, s0
	v_and_b32_e32 v21, 0xff, v10
	v_and_b32_e32 v18, 0xff, v9
	;; [unrolled: 1-line block ×3, first 2 shown]
	v_cmp_gt_u32_e64 s0, 7, v6
	v_mov_b32_e32 v36, 2
	v_mul_lo_u16 v21, v21, 37
	v_mul_lo_u16 v18, v18, 37
	;; [unrolled: 1-line block ×3, first 2 shown]
	v_lshrrev_b16 v21, 8, v21
	v_lshrrev_b16 v18, 8, v18
	;; [unrolled: 1-line block ×3, first 2 shown]
	v_sub_nc_u16 v24, v10, v21
	v_sub_nc_u16 v22, v9, v18
	;; [unrolled: 1-line block ×3, first 2 shown]
	v_lshrrev_b16 v24, 1, v24
	v_lshrrev_b16 v22, 1, v22
	;; [unrolled: 1-line block ×3, first 2 shown]
	v_and_b32_e32 v24, 0x7f, v24
	v_and_b32_e32 v22, 0x7f, v22
	v_and_b32_e32 v25, 0x7f, v25
	v_add_nc_u16 v21, v24, v21
	v_add_nc_u32_e32 v24, -7, v6
	v_add_nc_u16 v18, v22, v18
	v_mov_b32_e32 v22, 0
	v_add_nc_u16 v23, v25, v23
	v_lshrrev_b16 v25, 2, v21
	v_cndmask_b32_e64 v21, v24, v6, s0
	v_lshrrev_b16 v18, 2, v18
	v_lshrrev_b16 v24, 2, v23
	v_mul_lo_u16 v35, v25, 7
	v_lshlrev_b64 v[22:23], 2, v[21:22]
	v_mul_lo_u16 v34, v18, 7
	v_lshlrev_b32_e32 v21, 1, v21
	v_mul_lo_u16 v24, v24, 7
	v_sub_nc_u16 v41, v10, v35
	v_and_b32_e32 v18, 0xffff, v18
	v_add_co_u32 v22, s0, s8, v22
	v_sub_nc_u16 v40, v9, v34
	v_add_co_ci_u32_e64 v23, s0, s9, v23, s0
	v_sub_nc_u16 v34, v11, v24
	v_lshlrev_b32_sdwa v11, v36, v41 dst_sel:DWORD dst_unused:UNUSED_PAD src0_sel:DWORD src1_sel:BYTE_0
	v_lshlrev_b32_sdwa v10, v36, v40 dst_sel:DWORD dst_unused:UNUSED_PAD src0_sel:DWORD src1_sel:BYTE_0
	global_load_dword v35, v[22:23], off
	v_cmp_lt_u32_e64 s0, 6, v6
	v_lshlrev_b32_sdwa v22, v36, v34 dst_sel:DWORD dst_unused:UNUSED_PAD src0_sel:DWORD src1_sel:BYTE_0
	s_clause 0x2
	global_load_dword v36, v10, s[8:9]
	global_load_dword v37, v11, s[8:9]
	;; [unrolled: 1-line block ×3, first 2 shown]
	v_cndmask_b32_e64 v10, 0, 28, s0
	v_and_b32_e32 v22, 0xffff, v25
	s_waitcnt vmcnt(0) lgkmcnt(0)
	s_barrier
	buffer_gl0_inv
	v_add_nc_u32_e32 v11, 0, v10
	v_mov_b32_e32 v10, 1
	v_add3_u32 v39, v11, v21, v15
	v_mad_u32_u24 v11, v18, 28, 0
	v_mad_u32_u24 v18, v22, 28, 0
	v_lshlrev_b32_sdwa v21, v10, v40 dst_sel:DWORD dst_unused:UNUSED_PAD src0_sel:DWORD src1_sel:BYTE_0
	v_lshlrev_b32_sdwa v22, v10, v41 dst_sel:DWORD dst_unused:UNUSED_PAD src0_sel:DWORD src1_sel:BYTE_0
	v_add3_u32 v40, v11, v21, v15
	v_mul_f16_sdwa v23, v30, v35 dst_sel:DWORD dst_unused:UNUSED_PAD src0_sel:DWORD src1_sel:WORD_1
	v_mul_f16_sdwa v24, v31, v36 dst_sel:DWORD dst_unused:UNUSED_PAD src0_sel:DWORD src1_sel:WORD_1
	;; [unrolled: 1-line block ×3, first 2 shown]
	v_fma_f16 v23, v16, v35, -v23
	v_mul_f16_sdwa v41, v33, v38 dst_sel:DWORD dst_unused:UNUSED_PAD src0_sel:DWORD src1_sel:WORD_1
	v_fma_f16 v11, v13, v36, -v24
	v_fma_f16 v21, v12, v37, -v25
	v_sub_f16_e32 v23, v5, v23
	v_fma_f16 v24, v17, v38, -v41
	v_add3_u32 v41, v18, v22, v15
	v_sub_f16_e32 v11, v7, v11
	v_sub_f16_e32 v18, v8, v21
	v_fma_f16 v21, v5, 2.0, -v23
	v_sub_f16_e32 v5, v0, v24
	ds_write_b16 v39, v23 offset:14
	v_fma_f16 v7, v7, 2.0, -v11
	v_fma_f16 v8, v8, 2.0, -v18
	ds_write_b16 v39, v21
	v_fma_f16 v0, v0, 2.0, -v5
	ds_write_b16 v40, v11 offset:14
	ds_write_b16 v40, v7
	ds_write_b16 v41, v8
	ds_write_b16 v41, v18 offset:14
	s_and_saveexec_b32 s0, s1
	s_cbranch_execz .LBB0_18
; %bb.17:
	v_lshlrev_b32_sdwa v7, v10, v34 dst_sel:DWORD dst_unused:UNUSED_PAD src0_sel:DWORD src1_sel:BYTE_0
	v_add3_u32 v7, 0, v7, v15
	ds_write_b16 v7, v0 offset:140
	ds_write_b16 v7, v5 offset:154
.LBB0_18:
	s_or_b32 exec_lo, exec_lo, s0
	s_waitcnt lgkmcnt(0)
	s_barrier
	buffer_gl0_inv
	ds_read_u16 v18, v14
	ds_read_u16 v21, v19 offset:28
	ds_read_u16 v24, v19 offset:56
	;; [unrolled: 1-line block ×5, first 2 shown]
	v_cmp_gt_u32_e64 s0, 2, v6
                                        ; implicit-def: $vgpr7
                                        ; implicit-def: $vgpr8
                                        ; implicit-def: $vgpr10
                                        ; implicit-def: $vgpr11
	s_and_saveexec_b32 s6, s0
	s_cbranch_execz .LBB0_20
; %bb.19:
	ds_read_u16 v5, v19 offset:52
	ds_read_u16 v11, v19 offset:80
	;; [unrolled: 1-line block ×4, first 2 shown]
	ds_read_u16 v0, v20
	ds_read_u16 v7, v19 offset:164
.LBB0_20:
	s_or_b32 exec_lo, exec_lo, s6
	v_mul_f16_sdwa v13, v13, v36 dst_sel:DWORD dst_unused:UNUSED_PAD src0_sel:DWORD src1_sel:WORD_1
	v_mul_f16_sdwa v17, v17, v38 dst_sel:DWORD dst_unused:UNUSED_PAD src0_sel:DWORD src1_sel:WORD_1
	;; [unrolled: 1-line block ×4, first 2 shown]
	s_waitcnt lgkmcnt(0)
	v_fmac_f16_e32 v13, v31, v36
	v_fmac_f16_e32 v17, v33, v38
	;; [unrolled: 1-line block ×4, first 2 shown]
	s_barrier
	v_sub_f16_e32 v30, v28, v13
	v_sub_f16_e32 v13, v26, v17
	;; [unrolled: 1-line block ×4, first 2 shown]
	buffer_gl0_inv
	v_fma_f16 v12, v26, 2.0, -v13
	v_fma_f16 v17, v27, 2.0, -v16
	;; [unrolled: 1-line block ×4, first 2 shown]
	ds_write_b16 v39, v16 offset:14
	ds_write_b16 v39, v17
	ds_write_b16 v40, v27
	ds_write_b16 v40, v30 offset:14
	ds_write_b16 v41, v28
	ds_write_b16 v41, v31 offset:14
	s_and_saveexec_b32 s6, s1
	s_cbranch_execz .LBB0_22
; %bb.21:
	v_mov_b32_e32 v16, 1
	v_lshlrev_b32_sdwa v16, v16, v34 dst_sel:DWORD dst_unused:UNUSED_PAD src0_sel:DWORD src1_sel:BYTE_0
	v_add3_u32 v15, 0, v16, v15
	ds_write_b16 v15, v12 offset:140
	ds_write_b16 v15, v13 offset:154
.LBB0_22:
	s_or_b32 exec_lo, exec_lo, s6
	s_waitcnt lgkmcnt(0)
	s_barrier
	buffer_gl0_inv
	ds_read_u16 v26, v14
	ds_read_u16 v27, v19 offset:28
	ds_read_u16 v30, v19 offset:56
	;; [unrolled: 1-line block ×5, first 2 shown]
                                        ; implicit-def: $vgpr14
                                        ; implicit-def: $vgpr15
                                        ; implicit-def: $vgpr16
                                        ; implicit-def: $vgpr17
	s_and_saveexec_b32 s1, s0
	s_cbranch_execz .LBB0_24
; %bb.23:
	ds_read_u16 v13, v19 offset:52
	ds_read_u16 v17, v19 offset:80
	;; [unrolled: 1-line block ×4, first 2 shown]
	ds_read_u16 v12, v20
	ds_read_u16 v14, v19 offset:164
.LBB0_24:
	s_or_b32 exec_lo, exec_lo, s1
	s_and_saveexec_b32 s1, vcc_lo
	s_cbranch_execz .LBB0_27
; %bb.25:
	v_mul_u32_u24_e32 v19, 5, v6
	v_mul_lo_u32 v36, s5, v3
	v_mul_lo_u32 v4, s4, v4
	v_lshlrev_b64 v[1:2], 2, v[1:2]
	v_lshlrev_b32_e32 v19, 2, v19
	s_clause 0x1
	global_load_dwordx4 v[32:35], v19, s[8:9] offset:28
	global_load_dword v53, v19, s[8:9] offset:44
	v_lshrrev_b32_e32 v19, 1, v6
	v_mul_hi_u32 v19, 0x92492493, v19
	v_lshrrev_b32_e32 v37, 2, v19
	v_mad_u64_u32 v[19:20], null, s4, v3, 0
	v_add_nc_u32_e32 v3, 12, v6
	v_mul_lo_u32 v37, v37, 14
	v_cmp_gt_u32_e32 vcc_lo, 14, v3
	v_add3_u32 v20, v20, v4, v36
	v_sub_nc_u32_e32 v48, v6, v37
	v_lshlrev_b64 v[19:20], 2, v[19:20]
	v_mad_u64_u32 v[36:37], null, s2, v48, 0
	v_add_nc_u32_e32 v49, 14, v48
	v_add_nc_u32_e32 v50, 28, v48
	;; [unrolled: 1-line block ×5, first 2 shown]
	v_mad_u64_u32 v[38:39], null, s2, v49, 0
	v_mad_u64_u32 v[40:41], null, s2, v50, 0
	;; [unrolled: 1-line block ×4, first 2 shown]
	v_mov_b32_e32 v4, v37
	v_mad_u64_u32 v[46:47], null, s2, v54, 0
	v_add_co_u32 v55, s1, s14, v19
	v_add_co_ci_u32_e64 v56, s1, s15, v20, s1
	v_mad_u64_u32 v[19:20], null, s3, v48, v[4:5]
	v_mov_b32_e32 v4, v39
	v_mov_b32_e32 v20, v41
	;; [unrolled: 1-line block ×5, first 2 shown]
	v_mad_u64_u32 v[47:48], null, s3, v49, v[4:5]
	v_mad_u64_u32 v[48:49], null, s3, v50, v[20:21]
	;; [unrolled: 1-line block ×5, first 2 shown]
	v_mov_b32_e32 v37, v19
	v_mov_b32_e32 v39, v47
	;; [unrolled: 1-line block ×5, first 2 shown]
	v_lshlrev_b64 v[19:20], 2, v[36:37]
	v_mov_b32_e32 v47, v51
	v_lshlrev_b64 v[36:37], 2, v[38:39]
	v_lshlrev_b64 v[38:39], 2, v[40:41]
	;; [unrolled: 1-line block ×5, first 2 shown]
	v_add_co_u32 v1, s1, v55, v1
	v_add_co_ci_u32_e64 v2, s1, v56, v2, s1
	v_add_co_u32 v19, s1, v1, v19
	v_add_co_ci_u32_e64 v20, s1, v2, v20, s1
	;; [unrolled: 2-line block ×7, first 2 shown]
	s_waitcnt vmcnt(1)
	v_mul_f16_sdwa v47, v24, v33 dst_sel:DWORD dst_unused:UNUSED_PAD src0_sel:DWORD src1_sel:WORD_1
	v_mul_f16_sdwa v48, v25, v35 dst_sel:DWORD dst_unused:UNUSED_PAD src0_sel:DWORD src1_sel:WORD_1
	s_waitcnt lgkmcnt(2)
	v_mul_f16_sdwa v50, v28, v34 dst_sel:DWORD dst_unused:UNUSED_PAD src0_sel:DWORD src1_sel:WORD_1
	s_waitcnt vmcnt(0) lgkmcnt(0)
	v_mul_f16_sdwa v51, v29, v53 dst_sel:DWORD dst_unused:UNUSED_PAD src0_sel:DWORD src1_sel:WORD_1
	v_mul_f16_sdwa v52, v22, v34 dst_sel:DWORD dst_unused:UNUSED_PAD src0_sel:DWORD src1_sel:WORD_1
	;; [unrolled: 1-line block ×7, first 2 shown]
	v_fmac_f16_e32 v47, v30, v33
	v_fmac_f16_e32 v48, v31, v35
	v_fma_f16 v22, v22, v34, -v50
	v_fma_f16 v23, v23, v53, -v51
	v_fmac_f16_e32 v52, v28, v34
	v_fmac_f16_e32 v54, v29, v53
	v_fma_f16 v4, v24, v33, -v4
	v_fma_f16 v24, v25, v35, -v46
	;; [unrolled: 1-line block ×3, first 2 shown]
	v_fmac_f16_e32 v55, v27, v32
	v_add_f16_e32 v27, v47, v48
	v_add_f16_e32 v28, v22, v23
	v_add_f16_e32 v31, v52, v54
	v_sub_f16_e32 v25, v4, v24
	v_sub_f16_e32 v29, v52, v54
	;; [unrolled: 1-line block ×3, first 2 shown]
	v_add_f16_e32 v32, v26, v47
	v_add_f16_e32 v33, v55, v52
	;; [unrolled: 1-line block ×5, first 2 shown]
	v_fma_f16 v26, -0.5, v27, v26
	v_fma_f16 v21, -0.5, v28, v21
	;; [unrolled: 1-line block ×3, first 2 shown]
	v_add_f16_e32 v28, v32, v48
	v_add_f16_e32 v31, v33, v54
	;; [unrolled: 1-line block ×4, first 2 shown]
	v_fmamk_f16 v24, v29, 0xbaee, v21
	v_fmamk_f16 v32, v30, 0x3aee, v27
	v_fmac_f16_e32 v27, 0xbaee, v30
	v_fmac_f16_e32 v21, 0x3aee, v29
	v_sub_f16_e32 v35, v47, v48
	v_fma_f16 v18, -0.5, v34, v18
	v_fmamk_f16 v23, v25, 0x3aee, v26
	v_fmac_f16_e32 v26, 0xbaee, v25
	v_sub_f16_e32 v25, v28, v31
	v_sub_f16_e32 v30, v4, v22
	v_add_f16_e32 v28, v28, v31
	v_add_f16_e32 v4, v4, v22
	v_mul_f16_e32 v22, -0.5, v32
	v_mul_f16_e32 v31, 0xbaee, v21
	v_mul_f16_e32 v34, 0x3aee, v27
	v_mul_f16_e32 v33, -0.5, v24
	v_fmamk_f16 v29, v35, 0xbaee, v18
	v_fmac_f16_e32 v18, 0x3aee, v35
	v_fmac_f16_e32 v22, 0xbaee, v24
	v_fmac_f16_e32 v31, 0.5, v27
	v_fmac_f16_e32 v34, 0.5, v21
	v_fmac_f16_e32 v33, 0x3aee, v32
	v_pack_b32_f16 v24, v30, v25
	v_sub_f16_e32 v21, v23, v22
	v_add_f16_e32 v22, v23, v22
	v_add_f16_e32 v23, v26, v31
	;; [unrolled: 1-line block ×4, first 2 shown]
	v_pack_b32_f16 v4, v4, v28
	v_sub_f16_e32 v26, v26, v31
	v_sub_f16_e32 v18, v18, v34
	;; [unrolled: 1-line block ×3, first 2 shown]
	v_pack_b32_f16 v23, v25, v23
	v_pack_b32_f16 v22, v27, v22
	global_store_dword v[19:20], v4, off
	v_pack_b32_f16 v4, v18, v26
	v_pack_b32_f16 v18, v28, v21
	global_store_dword v[36:37], v23, off
	global_store_dword v[38:39], v22, off
	;; [unrolled: 1-line block ×5, first 2 shown]
	s_and_b32 exec_lo, exec_lo, vcc_lo
	s_cbranch_execz .LBB0_27
; %bb.26:
	v_add_nc_u32_e32 v4, -2, v6
	v_mov_b32_e32 v19, 0
	v_add_nc_u32_e32 v34, 26, v6
	v_add_nc_u32_e32 v35, 40, v6
	;; [unrolled: 1-line block ×3, first 2 shown]
	v_cndmask_b32_e64 v4, v4, v9, s0
	v_add_nc_u32_e32 v37, 0x44, v6
	v_add_nc_u32_e32 v39, 0x52, v6
	v_mad_u64_u32 v[24:25], null, s2, v34, 0
	v_mul_i32_i24_e32 v18, 5, v4
	v_mad_u64_u32 v[26:27], null, s2, v35, 0
	v_mad_u64_u32 v[28:29], null, s2, v36, 0
	v_lshlrev_b64 v[18:19], 2, v[18:19]
	v_mad_u64_u32 v[30:31], null, s2, v37, 0
	v_mad_u64_u32 v[32:33], null, s2, v39, 0
	v_mov_b32_e32 v6, v27
	v_add_co_u32 v22, vcc_lo, s8, v18
	v_add_co_ci_u32_e32 v23, vcc_lo, s9, v19, vcc_lo
	v_mov_b32_e32 v9, v29
	s_clause 0x1
	global_load_dwordx4 v[18:21], v[22:23], off offset:28
	global_load_dword v38, v[22:23], off offset:44
	v_mad_u64_u32 v[22:23], null, s2, v3, 0
	v_mov_b32_e32 v4, v23
	v_mov_b32_e32 v23, v31
	v_mad_u64_u32 v[3:4], null, s3, v3, v[4:5]
	v_mov_b32_e32 v4, v25
	v_mov_b32_e32 v25, v33
	v_mad_u64_u32 v[33:34], null, s3, v34, v[4:5]
	v_mad_u64_u32 v[34:35], null, s3, v35, v[6:7]
	;; [unrolled: 1-line block ×4, first 2 shown]
	v_mov_b32_e32 v23, v3
	v_mad_u64_u32 v[3:4], null, s3, v39, v[25:26]
	v_mov_b32_e32 v25, v33
	v_mov_b32_e32 v27, v34
	v_lshlrev_b64 v[22:23], 2, v[22:23]
	v_mov_b32_e32 v29, v35
	v_mov_b32_e32 v31, v36
	;; [unrolled: 1-line block ×3, first 2 shown]
	v_lshlrev_b64 v[3:4], 2, v[24:25]
	v_lshlrev_b64 v[24:25], 2, v[26:27]
	v_add_co_u32 v22, vcc_lo, v1, v22
	v_add_co_ci_u32_e32 v23, vcc_lo, v2, v23, vcc_lo
	v_lshlrev_b64 v[26:27], 2, v[28:29]
	v_add_co_u32 v3, vcc_lo, v1, v3
	v_add_co_ci_u32_e32 v4, vcc_lo, v2, v4, vcc_lo
	;; [unrolled: 3-line block ×4, first 2 shown]
	v_add_co_u32 v28, vcc_lo, v1, v28
	v_add_co_ci_u32_e32 v29, vcc_lo, v2, v29, vcc_lo
	v_add_co_u32 v1, vcc_lo, v1, v30
	v_add_co_ci_u32_e32 v2, vcc_lo, v2, v31, vcc_lo
	s_waitcnt vmcnt(1)
	v_mul_f16_sdwa v6, v13, v18 dst_sel:DWORD dst_unused:UNUSED_PAD src0_sel:DWORD src1_sel:WORD_1
	v_mul_f16_sdwa v30, v17, v19 dst_sel:DWORD dst_unused:UNUSED_PAD src0_sel:DWORD src1_sel:WORD_1
	;; [unrolled: 1-line block ×7, first 2 shown]
	s_waitcnt vmcnt(0)
	v_mul_f16_sdwa v36, v14, v38 dst_sel:DWORD dst_unused:UNUSED_PAD src0_sel:DWORD src1_sel:WORD_1
	v_mul_f16_sdwa v37, v7, v38 dst_sel:DWORD dst_unused:UNUSED_PAD src0_sel:DWORD src1_sel:WORD_1
	;; [unrolled: 1-line block ×3, first 2 shown]
	v_fma_f16 v5, v5, v18, -v6
	v_fma_f16 v6, v11, v19, -v30
	v_fmac_f16_e32 v31, v17, v19
	v_fma_f16 v10, v10, v20, -v32
	v_fmac_f16_e32 v33, v16, v20
	;; [unrolled: 2-line block ×4, first 2 shown]
	v_fmac_f16_e32 v9, v13, v18
	v_add_f16_e32 v13, v6, v8
	v_add_f16_e32 v16, v31, v35
	;; [unrolled: 1-line block ×5, first 2 shown]
	v_sub_f16_e32 v14, v31, v35
	v_add_f16_e32 v15, v12, v31
	v_sub_f16_e32 v6, v6, v8
	v_add_f16_e32 v17, v5, v10
	v_sub_f16_e32 v19, v33, v37
	v_add_f16_e32 v20, v9, v33
	v_sub_f16_e32 v10, v10, v7
	v_fmac_f16_e32 v0, -0.5, v13
	v_fmac_f16_e32 v12, -0.5, v16
	;; [unrolled: 1-line block ×4, first 2 shown]
	v_add_f16_e32 v8, v11, v8
	v_add_f16_e32 v11, v15, v35
	;; [unrolled: 1-line block ×4, first 2 shown]
	v_fmamk_f16 v15, v14, 0x3aee, v0
	v_fmac_f16_e32 v0, 0xbaee, v14
	v_fmamk_f16 v14, v6, 0xbaee, v12
	v_fmac_f16_e32 v12, 0x3aee, v6
	v_fmamk_f16 v6, v19, 0x3aee, v5
	v_fmamk_f16 v16, v10, 0xbaee, v9
	v_fmac_f16_e32 v5, 0xbaee, v19
	v_fmac_f16_e32 v9, 0x3aee, v10
	v_add_f16_e32 v10, v8, v7
	v_add_f16_e32 v17, v11, v13
	v_sub_f16_e32 v7, v8, v7
	v_sub_f16_e32 v8, v11, v13
	v_mul_f16_e32 v11, 0x3aee, v16
	v_mul_f16_e32 v18, 0xbaee, v6
	v_mul_f16_e32 v13, -0.5, v5
	v_mul_f16_e32 v19, -0.5, v9
	v_pack_b32_f16 v10, v10, v17
	v_fmac_f16_e32 v11, 0.5, v6
	v_fmac_f16_e32 v18, 0.5, v16
	v_fmac_f16_e32 v13, 0x3aee, v9
	v_fmac_f16_e32 v19, 0xbaee, v5
	v_pack_b32_f16 v5, v7, v8
	v_add_f16_e32 v6, v15, v11
	v_add_f16_e32 v8, v14, v18
	;; [unrolled: 1-line block ×4, first 2 shown]
	v_sub_f16_e32 v11, v15, v11
	v_sub_f16_e32 v0, v0, v13
	;; [unrolled: 1-line block ×4, first 2 shown]
	v_pack_b32_f16 v6, v6, v8
	v_pack_b32_f16 v7, v7, v9
	global_store_dword v[22:23], v10, off
	v_pack_b32_f16 v8, v11, v13
	v_pack_b32_f16 v0, v0, v12
	global_store_dword v[3:4], v6, off
	global_store_dword v[24:25], v7, off
	global_store_dword v[26:27], v5, off
	global_store_dword v[28:29], v8, off
	global_store_dword v[1:2], v0, off
.LBB0_27:
	s_endpgm
	.section	.rodata,"a",@progbits
	.p2align	6, 0x0
	.amdhsa_kernel fft_rtc_fwd_len84_factors_7_2_6_wgs_120_tpt_12_halfLds_half_op_CI_CI_sbrr_dirReg
		.amdhsa_group_segment_fixed_size 0
		.amdhsa_private_segment_fixed_size 0
		.amdhsa_kernarg_size 104
		.amdhsa_user_sgpr_count 6
		.amdhsa_user_sgpr_private_segment_buffer 1
		.amdhsa_user_sgpr_dispatch_ptr 0
		.amdhsa_user_sgpr_queue_ptr 0
		.amdhsa_user_sgpr_kernarg_segment_ptr 1
		.amdhsa_user_sgpr_dispatch_id 0
		.amdhsa_user_sgpr_flat_scratch_init 0
		.amdhsa_user_sgpr_private_segment_size 0
		.amdhsa_wavefront_size32 1
		.amdhsa_uses_dynamic_stack 0
		.amdhsa_system_sgpr_private_segment_wavefront_offset 0
		.amdhsa_system_sgpr_workgroup_id_x 1
		.amdhsa_system_sgpr_workgroup_id_y 0
		.amdhsa_system_sgpr_workgroup_id_z 0
		.amdhsa_system_sgpr_workgroup_info 0
		.amdhsa_system_vgpr_workitem_id 0
		.amdhsa_next_free_vgpr 57
		.amdhsa_next_free_sgpr 31
		.amdhsa_reserve_vcc 1
		.amdhsa_reserve_flat_scratch 0
		.amdhsa_float_round_mode_32 0
		.amdhsa_float_round_mode_16_64 0
		.amdhsa_float_denorm_mode_32 3
		.amdhsa_float_denorm_mode_16_64 3
		.amdhsa_dx10_clamp 1
		.amdhsa_ieee_mode 1
		.amdhsa_fp16_overflow 0
		.amdhsa_workgroup_processor_mode 1
		.amdhsa_memory_ordered 1
		.amdhsa_forward_progress 0
		.amdhsa_shared_vgpr_count 0
		.amdhsa_exception_fp_ieee_invalid_op 0
		.amdhsa_exception_fp_denorm_src 0
		.amdhsa_exception_fp_ieee_div_zero 0
		.amdhsa_exception_fp_ieee_overflow 0
		.amdhsa_exception_fp_ieee_underflow 0
		.amdhsa_exception_fp_ieee_inexact 0
		.amdhsa_exception_int_div_zero 0
	.end_amdhsa_kernel
	.text
.Lfunc_end0:
	.size	fft_rtc_fwd_len84_factors_7_2_6_wgs_120_tpt_12_halfLds_half_op_CI_CI_sbrr_dirReg, .Lfunc_end0-fft_rtc_fwd_len84_factors_7_2_6_wgs_120_tpt_12_halfLds_half_op_CI_CI_sbrr_dirReg
                                        ; -- End function
	.section	.AMDGPU.csdata,"",@progbits
; Kernel info:
; codeLenInByte = 5724
; NumSgprs: 33
; NumVgprs: 57
; ScratchSize: 0
; MemoryBound: 0
; FloatMode: 240
; IeeeMode: 1
; LDSByteSize: 0 bytes/workgroup (compile time only)
; SGPRBlocks: 4
; VGPRBlocks: 7
; NumSGPRsForWavesPerEU: 33
; NumVGPRsForWavesPerEU: 57
; Occupancy: 16
; WaveLimiterHint : 1
; COMPUTE_PGM_RSRC2:SCRATCH_EN: 0
; COMPUTE_PGM_RSRC2:USER_SGPR: 6
; COMPUTE_PGM_RSRC2:TRAP_HANDLER: 0
; COMPUTE_PGM_RSRC2:TGID_X_EN: 1
; COMPUTE_PGM_RSRC2:TGID_Y_EN: 0
; COMPUTE_PGM_RSRC2:TGID_Z_EN: 0
; COMPUTE_PGM_RSRC2:TIDIG_COMP_CNT: 0
	.text
	.p2alignl 6, 3214868480
	.fill 48, 4, 3214868480
	.type	__hip_cuid_8863477a5c0cff8d,@object ; @__hip_cuid_8863477a5c0cff8d
	.section	.bss,"aw",@nobits
	.globl	__hip_cuid_8863477a5c0cff8d
__hip_cuid_8863477a5c0cff8d:
	.byte	0                               ; 0x0
	.size	__hip_cuid_8863477a5c0cff8d, 1

	.ident	"AMD clang version 19.0.0git (https://github.com/RadeonOpenCompute/llvm-project roc-6.4.0 25133 c7fe45cf4b819c5991fe208aaa96edf142730f1d)"
	.section	".note.GNU-stack","",@progbits
	.addrsig
	.addrsig_sym __hip_cuid_8863477a5c0cff8d
	.amdgpu_metadata
---
amdhsa.kernels:
  - .args:
      - .actual_access:  read_only
        .address_space:  global
        .offset:         0
        .size:           8
        .value_kind:     global_buffer
      - .offset:         8
        .size:           8
        .value_kind:     by_value
      - .actual_access:  read_only
        .address_space:  global
        .offset:         16
        .size:           8
        .value_kind:     global_buffer
      - .actual_access:  read_only
        .address_space:  global
        .offset:         24
        .size:           8
        .value_kind:     global_buffer
      - .actual_access:  read_only
        .address_space:  global
        .offset:         32
        .size:           8
        .value_kind:     global_buffer
      - .offset:         40
        .size:           8
        .value_kind:     by_value
      - .actual_access:  read_only
        .address_space:  global
        .offset:         48
        .size:           8
        .value_kind:     global_buffer
      - .actual_access:  read_only
        .address_space:  global
        .offset:         56
        .size:           8
        .value_kind:     global_buffer
      - .offset:         64
        .size:           4
        .value_kind:     by_value
      - .actual_access:  read_only
        .address_space:  global
        .offset:         72
        .size:           8
        .value_kind:     global_buffer
      - .actual_access:  read_only
        .address_space:  global
        .offset:         80
        .size:           8
        .value_kind:     global_buffer
      - .actual_access:  read_only
        .address_space:  global
        .offset:         88
        .size:           8
        .value_kind:     global_buffer
      - .actual_access:  write_only
        .address_space:  global
        .offset:         96
        .size:           8
        .value_kind:     global_buffer
    .group_segment_fixed_size: 0
    .kernarg_segment_align: 8
    .kernarg_segment_size: 104
    .language:       OpenCL C
    .language_version:
      - 2
      - 0
    .max_flat_workgroup_size: 120
    .name:           fft_rtc_fwd_len84_factors_7_2_6_wgs_120_tpt_12_halfLds_half_op_CI_CI_sbrr_dirReg
    .private_segment_fixed_size: 0
    .sgpr_count:     33
    .sgpr_spill_count: 0
    .symbol:         fft_rtc_fwd_len84_factors_7_2_6_wgs_120_tpt_12_halfLds_half_op_CI_CI_sbrr_dirReg.kd
    .uniform_work_group_size: 1
    .uses_dynamic_stack: false
    .vgpr_count:     57
    .vgpr_spill_count: 0
    .wavefront_size: 32
    .workgroup_processor_mode: 1
amdhsa.target:   amdgcn-amd-amdhsa--gfx1030
amdhsa.version:
  - 1
  - 2
...

	.end_amdgpu_metadata
